;; amdgpu-corpus repo=ROCm/rocFFT kind=compiled arch=gfx906 opt=O3
	.text
	.amdgcn_target "amdgcn-amd-amdhsa--gfx906"
	.amdhsa_code_object_version 6
	.protected	bluestein_single_back_len210_dim1_sp_op_CI_CI ; -- Begin function bluestein_single_back_len210_dim1_sp_op_CI_CI
	.globl	bluestein_single_back_len210_dim1_sp_op_CI_CI
	.p2align	8
	.type	bluestein_single_back_len210_dim1_sp_op_CI_CI,@function
bluestein_single_back_len210_dim1_sp_op_CI_CI: ; @bluestein_single_back_len210_dim1_sp_op_CI_CI
; %bb.0:
	s_load_dwordx4 s[0:3], s[4:5], 0x28
	v_mul_u32_u24_e32 v1, 0x889, v0
	v_lshrrev_b32_e32 v1, 16, v1
	v_lshl_add_u32 v55, s6, 1, v1
	v_mov_b32_e32 v56, 0
	s_waitcnt lgkmcnt(0)
	v_cmp_gt_u64_e32 vcc, s[0:1], v[55:56]
	s_and_saveexec_b64 s[0:1], vcc
	s_cbranch_execz .LBB0_23
; %bb.1:
	s_load_dwordx2 s[14:15], s[4:5], 0x0
	s_load_dwordx2 s[12:13], s[4:5], 0x38
	v_mul_lo_u16_e32 v2, 30, v1
	v_sub_u16_e32 v56, v0, v2
	v_and_b32_e32 v0, 1, v1
	v_mov_b32_e32 v1, 0xd2
	v_cmp_eq_u32_e32 vcc, 1, v0
	v_cndmask_b32_e32 v58, 0, v1, vcc
	v_cmp_gt_u16_e32 vcc, 21, v56
	v_lshlrev_b32_e32 v57, 3, v56
	v_lshlrev_b32_e32 v59, 3, v58
	s_and_saveexec_b64 s[6:7], vcc
	s_cbranch_execz .LBB0_3
; %bb.2:
	s_load_dwordx2 s[0:1], s[4:5], 0x18
	v_lshl_add_u32 v42, v56, 3, v59
	v_add_u32_e32 v43, v59, v57
	s_waitcnt lgkmcnt(0)
	s_load_dwordx4 s[8:11], s[0:1], 0x0
	s_waitcnt lgkmcnt(0)
	v_mad_u64_u32 v[0:1], s[0:1], s10, v55, 0
	v_mad_u64_u32 v[2:3], s[0:1], s8, v56, 0
	;; [unrolled: 1-line block ×4, first 2 shown]
	v_mov_b32_e32 v1, v4
	v_lshlrev_b64 v[0:1], 3, v[0:1]
	v_mov_b32_e32 v3, v5
	v_mov_b32_e32 v6, s3
	v_lshlrev_b64 v[2:3], 3, v[2:3]
	v_add_co_u32_e64 v0, s[0:1], s2, v0
	v_addc_co_u32_e64 v1, s[0:1], v6, v1, s[0:1]
	v_add_co_u32_e64 v0, s[0:1], v0, v2
	v_addc_co_u32_e64 v1, s[0:1], v1, v3, s[0:1]
	s_mul_i32 s0, s9, 0xa8
	s_mul_hi_u32 s1, s8, 0xa8
	s_mul_i32 s2, s8, 0xa8
	s_add_i32 s0, s1, s0
	global_load_dwordx2 v[2:3], v[0:1], off
	global_load_dwordx2 v[4:5], v57, s[14:15]
	global_load_dwordx2 v[6:7], v57, s[14:15] offset:168
	global_load_dwordx2 v[8:9], v57, s[14:15] offset:336
	;; [unrolled: 1-line block ×8, first 2 shown]
	v_mov_b32_e32 v22, s0
	v_mov_b32_e32 v23, s0
	;; [unrolled: 1-line block ×9, first 2 shown]
	v_add_co_u32_e64 v0, s[0:1], s2, v0
	v_addc_co_u32_e64 v1, s[0:1], v1, v22, s[0:1]
	v_add_co_u32_e64 v22, s[0:1], s2, v0
	v_addc_co_u32_e64 v23, s[0:1], v1, v23, s[0:1]
	;; [unrolled: 2-line block ×3, first 2 shown]
	global_load_dwordx2 v[0:1], v[0:1], off
	s_nop 0
	global_load_dwordx2 v[26:27], v[22:23], off
	global_load_dwordx2 v[28:29], v[24:25], off
	v_add_co_u32_e64 v22, s[0:1], s2, v24
	v_addc_co_u32_e64 v23, s[0:1], v25, v30, s[0:1]
	global_load_dwordx2 v[24:25], v[22:23], off
	v_add_co_u32_e64 v22, s[0:1], s2, v22
	v_addc_co_u32_e64 v23, s[0:1], v23, v31, s[0:1]
	global_load_dwordx2 v[30:31], v[22:23], off
	v_add_co_u32_e64 v22, s[0:1], s2, v22
	v_addc_co_u32_e64 v23, s[0:1], v23, v32, s[0:1]
	global_load_dwordx2 v[32:33], v[22:23], off
	v_add_co_u32_e64 v22, s[0:1], s2, v22
	v_addc_co_u32_e64 v23, s[0:1], v23, v34, s[0:1]
	global_load_dwordx2 v[34:35], v[22:23], off
	v_add_co_u32_e64 v22, s[0:1], s2, v22
	v_addc_co_u32_e64 v23, s[0:1], v23, v36, s[0:1]
	global_load_dwordx2 v[36:37], v[22:23], off
	v_add_co_u32_e64 v22, s[0:1], s2, v22
	v_addc_co_u32_e64 v23, s[0:1], v23, v38, s[0:1]
	global_load_dwordx2 v[38:39], v57, s[14:15] offset:1512
	global_load_dwordx2 v[40:41], v[22:23], off
	s_waitcnt vmcnt(18)
	v_mul_f32_e32 v23, v2, v5
	v_mul_f32_e32 v22, v3, v5
	v_fma_f32 v23, v3, v4, -v23
	v_fmac_f32_e32 v22, v2, v4
	ds_write_b64 v42, v[22:23]
	s_waitcnt vmcnt(9)
	v_mul_f32_e32 v3, v0, v7
	v_mul_f32_e32 v2, v1, v7
	v_fma_f32 v3, v1, v6, -v3
	v_fmac_f32_e32 v2, v0, v6
	s_waitcnt vmcnt(8)
	v_mul_f32_e32 v0, v27, v9
	v_mul_f32_e32 v1, v26, v9
	v_fmac_f32_e32 v0, v26, v8
	v_fma_f32 v1, v27, v8, -v1
	ds_write2_b64 v43, v[2:3], v[0:1] offset0:21 offset1:42
	s_waitcnt vmcnt(7)
	v_mul_f32_e32 v0, v29, v11
	v_mul_f32_e32 v1, v28, v11
	s_waitcnt vmcnt(6)
	v_mul_f32_e32 v2, v25, v13
	v_mul_f32_e32 v3, v24, v13
	v_fmac_f32_e32 v0, v28, v10
	v_fma_f32 v1, v29, v10, -v1
	v_fmac_f32_e32 v2, v24, v12
	v_fma_f32 v3, v25, v12, -v3
	ds_write2_b64 v43, v[0:1], v[2:3] offset0:63 offset1:84
	s_waitcnt vmcnt(5)
	v_mul_f32_e32 v0, v31, v15
	v_mul_f32_e32 v1, v30, v15
	s_waitcnt vmcnt(4)
	v_mul_f32_e32 v2, v33, v17
	v_mul_f32_e32 v3, v32, v17
	v_fmac_f32_e32 v0, v30, v14
	v_fma_f32 v1, v31, v14, -v1
	;; [unrolled: 11-line block ×3, first 2 shown]
	v_fmac_f32_e32 v2, v36, v20
	v_fma_f32 v3, v37, v20, -v3
	ds_write2_b64 v43, v[0:1], v[2:3] offset0:147 offset1:168
	s_waitcnt vmcnt(0)
	v_mul_f32_e32 v0, v41, v39
	v_mul_f32_e32 v1, v40, v39
	v_fmac_f32_e32 v0, v40, v38
	v_fma_f32 v1, v41, v38, -v1
	ds_write_b64 v43, v[0:1] offset:1512
.LBB0_3:
	s_or_b64 exec, exec, s[6:7]
	s_load_dwordx2 s[0:1], s[4:5], 0x20
	s_load_dwordx2 s[8:9], s[4:5], 0x8
	s_waitcnt lgkmcnt(0)
	; wave barrier
	s_waitcnt lgkmcnt(0)
                                        ; implicit-def: $vgpr6
                                        ; implicit-def: $vgpr14
                                        ; implicit-def: $vgpr20
                                        ; implicit-def: $vgpr24
                                        ; implicit-def: $vgpr18
	s_and_saveexec_b64 s[2:3], vcc
	s_cbranch_execz .LBB0_5
; %bb.4:
	v_lshl_add_u32 v0, v58, 3, v57
	ds_read2_b64 v[16:19], v0 offset1:21
	ds_read2_b64 v[4:7], v0 offset0:42 offset1:63
	ds_read2_b64 v[12:15], v0 offset0:84 offset1:105
	;; [unrolled: 1-line block ×4, first 2 shown]
.LBB0_5:
	s_or_b64 exec, exec, s[2:3]
	s_waitcnt lgkmcnt(0)
	v_sub_f32_e32 v2, v4, v12
	v_sub_f32_e32 v3, v24, v20
	v_add_f32_e32 v32, v3, v2
	v_add_f32_e32 v2, v24, v4
	v_fma_f32 v29, -0.5, v2, v16
	v_sub_f32_e32 v1, v13, v21
	v_mov_b32_e32 v28, v29
	v_sub_f32_e32 v0, v5, v25
	v_fmac_f32_e32 v28, 0xbf737871, v1
	v_sub_f32_e32 v2, v12, v4
	v_sub_f32_e32 v3, v20, v24
	v_fmac_f32_e32 v29, 0x3f737871, v1
	v_fmac_f32_e32 v28, 0x3f167918, v0
	v_add_f32_e32 v2, v3, v2
	v_fmac_f32_e32 v29, 0xbf167918, v0
	v_fmac_f32_e32 v28, 0x3e9e377a, v2
	;; [unrolled: 1-line block ×3, first 2 shown]
	v_sub_f32_e32 v2, v5, v13
	v_sub_f32_e32 v3, v25, v21
	v_add_f32_e32 v35, v3, v2
	v_add_f32_e32 v2, v25, v5
	v_fma_f32 v31, -0.5, v2, v17
	v_sub_f32_e32 v34, v12, v20
	v_mov_b32_e32 v30, v31
	v_sub_f32_e32 v33, v4, v24
	v_fmac_f32_e32 v30, 0x3f737871, v34
	v_sub_f32_e32 v2, v13, v5
	v_sub_f32_e32 v3, v21, v25
	v_fmac_f32_e32 v31, 0xbf737871, v34
	v_fmac_f32_e32 v30, 0xbf167918, v33
	v_add_f32_e32 v2, v3, v2
	v_fmac_f32_e32 v31, 0x3f167918, v33
	v_fmac_f32_e32 v30, 0x3e9e377a, v2
	;; [unrolled: 1-line block ×3, first 2 shown]
	v_add_f32_e32 v2, v14, v22
	v_fma_f32 v36, -0.5, v2, v18
	v_sub_f32_e32 v2, v6, v14
	v_sub_f32_e32 v3, v26, v22
	v_add_f32_e32 v39, v2, v3
	v_add_f32_e32 v3, v6, v26
	v_fma_f32 v3, -0.5, v3, v18
	v_sub_f32_e32 v38, v15, v23
	v_mov_b32_e32 v8, v3
	v_sub_f32_e32 v37, v7, v27
	v_fmac_f32_e32 v8, 0xbf737871, v38
	v_sub_f32_e32 v9, v14, v6
	v_sub_f32_e32 v10, v22, v26
	v_fmac_f32_e32 v3, 0x3f737871, v38
	v_fmac_f32_e32 v8, 0x3f167918, v37
	v_add_f32_e32 v9, v9, v10
	v_fmac_f32_e32 v3, 0xbf167918, v37
	v_fmac_f32_e32 v8, 0x3e9e377a, v9
	;; [unrolled: 1-line block ×3, first 2 shown]
	v_sub_f32_e32 v9, v7, v15
	v_sub_f32_e32 v10, v27, v23
	v_add_f32_e32 v45, v9, v10
	v_add_f32_e32 v9, v7, v27
	v_fma_f32 v9, -0.5, v9, v19
	v_sub_f32_e32 v10, v15, v7
	v_sub_f32_e32 v11, v23, v27
	;; [unrolled: 1-line block ×3, first 2 shown]
	v_add_f32_e32 v10, v10, v11
	v_mov_b32_e32 v11, v9
	v_sub_f32_e32 v43, v6, v26
	v_fmac_f32_e32 v11, 0x3f737871, v44
	v_fmac_f32_e32 v11, 0xbf167918, v43
	;; [unrolled: 1-line block ×5, first 2 shown]
	v_mul_f32_e32 v40, 0x3f737871, v11
	s_mov_b32 s2, 0x3f737871
	v_fmac_f32_e32 v9, 0x3e9e377a, v10
	v_fmac_f32_e32 v40, 0x3e9e377a, v8
	v_mul_f32_e32 v42, 0xbf737871, v8
	v_mul_f32_e32 v8, 0x3e9e377a, v3
	s_mov_b32 s4, 0xbf737871
	v_fma_f32 v41, v9, s2, -v8
	v_mul_f32_e32 v8, 0x3e9e377a, v9
	v_fma_f32 v46, v3, s4, -v8
	v_add_f32_e32 v3, v15, v23
	v_mov_b32_e32 v2, v36
	v_fma_f32 v52, -0.5, v3, v19
	v_fmac_f32_e32 v2, 0xbf737871, v37
	v_mov_b32_e32 v3, v52
	v_fmac_f32_e32 v2, 0xbf167918, v38
	v_fmac_f32_e32 v3, 0x3f737871, v43
	;; [unrolled: 1-line block ×4, first 2 shown]
	s_mov_b32 s3, 0x3f167918
	v_fmac_f32_e32 v3, 0x3e9e377a, v45
	v_mul_f32_e32 v8, 0x3f4f1bbd, v2
	s_mov_b32 s5, 0xbf167918
	v_fma_f32 v47, v3, s3, -v8
	v_mul_f32_e32 v3, 0x3f4f1bbd, v3
	v_fma_f32 v49, v2, s5, -v3
	v_add_f32_e32 v2, v20, v12
	v_fma_f32 v51, -0.5, v2, v16
	v_add_f32_e32 v2, v21, v13
	v_fma_f32 v53, -0.5, v2, v17
	v_mov_b32_e32 v48, v51
	v_mov_b32_e32 v50, v53
	v_fmac_f32_e32 v48, 0xbf737871, v0
	v_fmac_f32_e32 v50, 0x3f737871, v33
	;; [unrolled: 1-line block ×7, first 2 shown]
	s_mov_b32 s4, 0x3f4f1bbd
	v_sub_f32_e32 v8, v29, v41
	v_sub_f32_e32 v10, v48, v47
	;; [unrolled: 1-line block ×6, first 2 shown]
	v_mul_lo_u16_e32 v62, 10, v56
	s_waitcnt lgkmcnt(0)
	; wave barrier
	s_and_saveexec_b64 s[2:3], vcc
	s_cbranch_execz .LBB0_7
; %bb.6:
	v_mul_f32_e32 v54, 0x3f167918, v1
	v_mul_f32_e32 v1, 0x3f737871, v33
	;; [unrolled: 1-line block ×3, first 2 shown]
	v_sub_f32_e32 v1, v53, v1
	v_mul_f32_e32 v34, 0x3e9e377a, v35
	v_mul_f32_e32 v35, 0x3f737871, v37
	;; [unrolled: 1-line block ×5, first 2 shown]
	v_sub_f32_e32 v1, v1, v33
	v_mul_f32_e32 v43, 0x3f167918, v44
	v_add_f32_e32 v33, v34, v1
	v_sub_f32_e32 v1, v52, v39
	v_add_f32_e32 v5, v5, v17
	v_add_f32_e32 v4, v4, v16
	v_mul_f32_e32 v44, 0x3e9e377a, v45
	v_sub_f32_e32 v1, v1, v43
	v_add_f32_e32 v5, v13, v5
	v_add_f32_e32 v4, v12, v4
	v_add_f32_e32 v34, v44, v1
	v_add_f32_e32 v1, v35, v36
	v_add_f32_e32 v5, v21, v5
	v_add_f32_e32 v4, v20, v4
	v_mul_f32_e32 v0, 0x3f737871, v0
	v_add_f32_e32 v1, v37, v1
	v_add_f32_e32 v17, v25, v5
	;; [unrolled: 1-line block ×9, first 2 shown]
	v_mul_f32_e32 v32, 0x3e9e377a, v32
	v_mul_f32_e32 v1, 0x3f167918, v35
	v_add_f32_e32 v5, v23, v5
	v_add_f32_e32 v0, v54, v0
	v_mul_f32_e32 v25, 0x3f167918, v34
	v_add_f32_e32 v4, v22, v4
	v_fma_f32 v36, v34, s4, -v1
	v_add_f32_e32 v21, v27, v5
	v_add_f32_e32 v23, v32, v0
	v_fmac_f32_e32 v25, 0x3f4f1bbd, v35
	v_add_f32_e32 v20, v26, v4
	v_sub_f32_e32 v7, v17, v21
	v_sub_f32_e32 v6, v16, v20
	v_add_f32_e32 v19, v33, v36
	v_add_f32_e32 v17, v21, v17
	;; [unrolled: 1-line block ×4, first 2 shown]
	v_add_lshl_u32 v20, v58, v62, 3
	v_sub_f32_e32 v1, v33, v36
	v_sub_f32_e32 v0, v23, v25
	v_add_f32_e32 v5, v50, v49
	v_add_f32_e32 v15, v31, v46
	;; [unrolled: 1-line block ×6, first 2 shown]
	ds_write_b128 v20, v[16:19]
	ds_write_b128 v20, v[12:15] offset:16
	ds_write_b128 v20, v[4:7] offset:32
	;; [unrolled: 1-line block ×4, first 2 shown]
.LBB0_7:
	s_or_b64 exec, exec, s[2:3]
	s_load_dwordx4 s[4:7], s[0:1], 0x0
	s_movk_i32 s0, 0xcd
	v_mul_lo_u16_sdwa v0, v56, s0 dst_sel:DWORD dst_unused:UNUSED_PAD src0_sel:BYTE_0 src1_sel:DWORD
	v_lshrrev_b16_e32 v32, 11, v0
	v_mul_lo_u16_e32 v0, 10, v32
	v_sub_u16_e32 v33, v56, v0
	v_mov_b32_e32 v0, 6
	v_mul_u32_u24_sdwa v0, v33, v0 dst_sel:DWORD dst_unused:UNUSED_PAD src0_sel:BYTE_0 src1_sel:DWORD
	v_lshlrev_b32_e32 v0, 3, v0
	s_waitcnt lgkmcnt(0)
	; wave barrier
	s_waitcnt lgkmcnt(0)
	global_load_dwordx4 v[16:19], v0, s[8:9]
	global_load_dwordx4 v[12:15], v0, s[8:9] offset:16
	global_load_dwordx4 v[4:7], v0, s[8:9] offset:32
	v_add_lshl_u32 v60, v58, v56, 3
	ds_read2_b64 v[20:23], v60 offset1:30
	ds_read2_b64 v[24:27], v60 offset0:60 offset1:90
	ds_read2_b64 v[28:31], v60 offset0:120 offset1:150
	ds_read_b64 v[0:1], v60 offset:1440
	s_mov_b32 s0, 0x3f5ff5aa
	s_mov_b32 s1, 0x3f3bfb3b
	;; [unrolled: 1-line block ×3, first 2 shown]
	v_mul_lo_u16_e32 v32, 0x46, v32
	v_and_b32_e32 v32, 0xfe, v32
	v_add_u32_sdwa v32, v32, v33 dst_sel:DWORD dst_unused:UNUSED_PAD src0_sel:DWORD src1_sel:BYTE_0
	v_add_lshl_u32 v63, v58, v32, 3
	s_waitcnt lgkmcnt(0)
	; wave barrier
	s_waitcnt vmcnt(2) lgkmcnt(0)
	v_mul_f32_e32 v34, v23, v17
	v_mul_f32_e32 v35, v22, v17
	;; [unrolled: 1-line block ×4, first 2 shown]
	s_waitcnt vmcnt(1)
	v_mul_f32_e32 v38, v27, v13
	s_waitcnt vmcnt(0)
	v_mul_f32_e32 v42, v31, v5
	v_mul_f32_e32 v43, v30, v5
	;; [unrolled: 1-line block ×7, first 2 shown]
	v_fma_f32 v22, v22, v16, -v34
	v_fmac_f32_e32 v35, v23, v16
	v_fma_f32 v23, v24, v18, -v36
	v_fmac_f32_e32 v37, v25, v18
	v_fma_f32 v24, v26, v12, -v38
	v_fma_f32 v26, v30, v4, -v42
	v_fmac_f32_e32 v43, v31, v4
	v_fma_f32 v0, v0, v6, -v44
	v_fmac_f32_e32 v45, v1, v6
	v_fmac_f32_e32 v39, v27, v12
	v_fma_f32 v25, v28, v14, -v40
	v_fmac_f32_e32 v41, v29, v14
	v_add_f32_e32 v1, v22, v0
	v_add_f32_e32 v27, v35, v45
	;; [unrolled: 1-line block ×4, first 2 shown]
	v_sub_f32_e32 v0, v22, v0
	v_sub_f32_e32 v22, v35, v45
	v_add_f32_e32 v30, v24, v25
	v_add_f32_e32 v31, v39, v41
	;; [unrolled: 1-line block ×4, first 2 shown]
	v_sub_f32_e32 v23, v23, v26
	v_sub_f32_e32 v26, v37, v43
	;; [unrolled: 1-line block ×10, first 2 shown]
	v_add_f32_e32 v30, v30, v34
	v_add_f32_e32 v31, v31, v35
	v_add_f32_e32 v38, v24, v23
	v_add_f32_e32 v39, v25, v26
	v_sub_f32_e32 v40, v24, v23
	v_sub_f32_e32 v41, v25, v26
	v_add_f32_e32 v20, v20, v30
	v_add_f32_e32 v21, v21, v31
	v_sub_f32_e32 v24, v0, v24
	v_sub_f32_e32 v25, v22, v25
	;; [unrolled: 1-line block ×4, first 2 shown]
	v_add_f32_e32 v0, v38, v0
	v_add_f32_e32 v22, v39, v22
	v_mul_f32_e32 v1, 0x3f4a47b2, v1
	v_mul_f32_e32 v27, 0x3f4a47b2, v27
	;; [unrolled: 1-line block ×5, first 2 shown]
	v_mov_b32_e32 v42, v20
	v_mov_b32_e32 v43, v21
	v_mul_f32_e32 v35, 0x3d64c772, v29
	v_mul_f32_e32 v40, 0x3f5ff5aa, v23
	;; [unrolled: 1-line block ×3, first 2 shown]
	v_fma_f32 v34, v36, s1, -v34
	v_fma_f32 v36, v36, s2, -v1
	v_fmac_f32_e32 v42, 0xbf955555, v30
	v_fmac_f32_e32 v43, 0xbf955555, v31
	;; [unrolled: 1-line block ×3, first 2 shown]
	v_fma_f32 v28, v37, s2, -v27
	v_fmac_f32_e32 v27, 0x3d64c772, v29
	v_fma_f32 v29, v23, s0, -v38
	v_fmac_f32_e32 v38, 0x3eae86e6, v24
	;; [unrolled: 2-line block ×3, first 2 shown]
	s_mov_b32 s0, 0xbeae86e6
	v_fma_f32 v35, v37, s1, -v35
	v_fma_f32 v31, v24, s0, -v40
	;; [unrolled: 1-line block ×3, first 2 shown]
	v_add_f32_e32 v1, v1, v42
	v_add_f32_e32 v40, v27, v43
	v_fmac_f32_e32 v38, 0x3ee1c552, v0
	v_fmac_f32_e32 v39, 0x3ee1c552, v22
	v_add_f32_e32 v34, v34, v42
	v_add_f32_e32 v35, v35, v43
	;; [unrolled: 1-line block ×4, first 2 shown]
	v_fmac_f32_e32 v29, 0x3ee1c552, v0
	v_fmac_f32_e32 v30, 0x3ee1c552, v22
	;; [unrolled: 1-line block ×4, first 2 shown]
	v_add_f32_e32 v22, v39, v1
	v_sub_f32_e32 v23, v40, v38
	v_add_f32_e32 v24, v37, v36
	v_sub_f32_e32 v25, v41, v31
	v_sub_f32_e32 v26, v34, v30
	v_add_f32_e32 v27, v29, v35
	v_add_f32_e32 v28, v30, v34
	v_sub_f32_e32 v29, v35, v29
	v_sub_f32_e32 v30, v36, v37
	v_add_f32_e32 v31, v31, v41
	v_sub_f32_e32 v0, v1, v39
	v_add_f32_e32 v1, v38, v40
	ds_write2_b64 v63, v[20:21], v[22:23] offset1:10
	ds_write2_b64 v63, v[24:25], v[26:27] offset0:20 offset1:30
	ds_write2_b64 v63, v[28:29], v[30:31] offset0:40 offset1:50
	ds_write_b64 v63, v[0:1] offset:480
	s_waitcnt lgkmcnt(0)
	; wave barrier
	s_waitcnt lgkmcnt(0)
	ds_read2_b64 v[32:35], v60 offset1:30
	ds_read2_b64 v[36:39], v60 offset0:70 offset1:100
	ds_read2_b64 v[40:43], v60 offset0:140 offset1:170
	v_cmp_gt_u16_e64 s[0:1], 10, v56
	s_and_saveexec_b64 s[2:3], s[0:1]
	s_cbranch_execz .LBB0_9
; %bb.8:
	ds_read2_b64 v[0:3], v60 offset0:60 offset1:130
	ds_read_b64 v[8:9], v60 offset:1600
.LBB0_9:
	s_or_b64 exec, exec, s[2:3]
	v_lshlrev_b32_e32 v20, 4, v56
	global_load_dwordx4 v[24:27], v20, s[8:9] offset:480
	v_add_u32_e32 v20, 0x1e0, v20
	global_load_dwordx4 v[28:31], v20, s[8:9] offset:480
	v_add_co_u32_e64 v20, s[2:3], 60, v56
	v_addc_co_u32_e64 v21, s[2:3], 0, 0, s[2:3]
	v_add_co_u32_e64 v22, s[2:3], -10, v56
	v_addc_co_u32_e64 v23, s[2:3], 0, -1, s[2:3]
	v_cndmask_b32_e64 v21, v23, v21, s[0:1]
	v_cndmask_b32_e64 v20, v22, v20, s[0:1]
	v_lshlrev_b64 v[20:21], 4, v[20:21]
	v_mov_b32_e32 v44, s9
	v_add_co_u32_e64 v20, s[2:3], s8, v20
	v_addc_co_u32_e64 v21, s[2:3], v44, v21, s[2:3]
	global_load_dwordx4 v[20:23], v[20:21], off offset:480
	v_lshl_add_u32 v61, v56, 3, v59
	s_waitcnt vmcnt(2) lgkmcnt(1)
	v_mul_f32_e32 v44, v37, v25
	v_mul_f32_e32 v45, v36, v25
	s_waitcnt lgkmcnt(0)
	v_mul_f32_e32 v46, v41, v27
	v_mul_f32_e32 v47, v40, v27
	v_fma_f32 v36, v36, v24, -v44
	v_fmac_f32_e32 v45, v37, v24
	v_fma_f32 v37, v40, v26, -v46
	v_fmac_f32_e32 v47, v41, v26
	s_waitcnt vmcnt(1)
	v_mul_f32_e32 v40, v39, v29
	v_mul_f32_e32 v44, v38, v29
	;; [unrolled: 1-line block ×4, first 2 shown]
	v_fma_f32 v38, v38, v28, -v40
	v_fmac_f32_e32 v44, v39, v28
	v_fma_f32 v42, v42, v30, -v41
	v_fmac_f32_e32 v46, v43, v30
	v_add_f32_e32 v39, v32, v36
	v_add_f32_e32 v41, v33, v45
	;; [unrolled: 1-line block ×3, first 2 shown]
	s_waitcnt vmcnt(0)
	v_mul_f32_e32 v50, v3, v21
	v_mul_f32_e32 v51, v2, v21
	;; [unrolled: 1-line block ×4, first 2 shown]
	v_add_f32_e32 v40, v36, v37
	v_sub_f32_e32 v48, v45, v47
	v_sub_f32_e32 v45, v36, v37
	v_add_f32_e32 v36, v39, v37
	v_add_f32_e32 v37, v41, v47
	v_fma_f32 v41, -0.5, v43, v33
	v_add_f32_e32 v33, v38, v42
	v_add_f32_e32 v43, v35, v44
	v_fma_f32 v2, v2, v20, -v50
	v_fmac_f32_e32 v51, v3, v20
	v_fma_f32 v3, v8, v22, -v52
	v_fmac_f32_e32 v53, v9, v22
	v_fma_f32 v40, -0.5, v40, v32
	v_add_f32_e32 v32, v34, v38
	v_sub_f32_e32 v47, v44, v46
	v_add_f32_e32 v44, v44, v46
	v_mov_b32_e32 v39, v41
	v_fma_f32 v34, -0.5, v33, v34
	v_add_f32_e32 v43, v43, v46
	v_add_f32_e32 v9, v2, v3
	;; [unrolled: 1-line block ×3, first 2 shown]
	v_sub_f32_e32 v49, v38, v42
	v_mov_b32_e32 v38, v40
	v_fmac_f32_e32 v41, 0x3f5db3d7, v45
	v_add_f32_e32 v42, v32, v42
	v_fmac_f32_e32 v35, -0.5, v44
	v_fmac_f32_e32 v39, 0xbf5db3d7, v45
	v_mov_b32_e32 v32, v34
	v_add_f32_e32 v8, v0, v2
	v_add_f32_e32 v45, v1, v51
	v_fmac_f32_e32 v0, -0.5, v9
	v_fmac_f32_e32 v1, -0.5, v46
	v_fmac_f32_e32 v40, 0xbf5db3d7, v48
	v_fmac_f32_e32 v38, 0x3f5db3d7, v48
	;; [unrolled: 1-line block ×3, first 2 shown]
	v_mov_b32_e32 v33, v35
	v_fmac_f32_e32 v32, 0x3f5db3d7, v47
	v_sub_f32_e32 v48, v51, v53
	v_sub_f32_e32 v2, v2, v3
	v_mov_b32_e32 v46, v0
	v_mov_b32_e32 v47, v1
	v_fmac_f32_e32 v35, 0x3f5db3d7, v49
	v_fmac_f32_e32 v33, 0xbf5db3d7, v49
	v_add_f32_e32 v44, v8, v3
	v_add_f32_e32 v45, v45, v53
	v_fmac_f32_e32 v0, 0xbf5db3d7, v48
	v_fmac_f32_e32 v46, 0x3f5db3d7, v48
	;; [unrolled: 1-line block ×4, first 2 shown]
	ds_write2_b64 v61, v[36:37], v[42:43] offset1:30
	ds_write2_b64 v61, v[38:39], v[32:33] offset0:70 offset1:100
	ds_write2_b64 v61, v[40:41], v[34:35] offset0:140 offset1:170
	s_and_saveexec_b64 s[2:3], s[0:1]
	s_cbranch_execz .LBB0_11
; %bb.10:
	ds_write2_b64 v61, v[44:45], v[46:47] offset0:60 offset1:130
	ds_write_b64 v61, v[0:1] offset:1600
.LBB0_11:
	s_or_b64 exec, exec, s[2:3]
	s_waitcnt lgkmcnt(0)
	; wave barrier
	s_waitcnt lgkmcnt(0)
	s_and_saveexec_b64 s[2:3], vcc
	s_cbranch_execz .LBB0_13
; %bb.12:
	global_load_dwordx2 v[2:3], v57, s[14:15] offset:1680
	ds_read2_b64 v[48:51], v61 offset1:21
	s_add_u32 s8, s14, 0x690
	s_addc_u32 s9, s15, 0
	s_waitcnt vmcnt(0) lgkmcnt(0)
	v_mul_f32_e32 v8, v49, v3
	v_mul_f32_e32 v9, v48, v3
	v_fma_f32 v8, v48, v2, -v8
	v_fmac_f32_e32 v9, v49, v2
	global_load_dwordx2 v[2:3], v57, s[8:9] offset:168
	s_waitcnt vmcnt(0)
	v_mul_f32_e32 v48, v51, v3
	v_mul_f32_e32 v49, v50, v3
	v_fma_f32 v48, v50, v2, -v48
	v_fmac_f32_e32 v49, v51, v2
	global_load_dwordx2 v[2:3], v57, s[8:9] offset:336
	ds_write2_b64 v61, v[8:9], v[48:49] offset1:21
	ds_read2_b64 v[48:51], v61 offset0:42 offset1:63
	s_waitcnt vmcnt(0) lgkmcnt(0)
	v_mul_f32_e32 v8, v49, v3
	v_mul_f32_e32 v9, v48, v3
	v_fma_f32 v8, v48, v2, -v8
	v_fmac_f32_e32 v9, v49, v2
	global_load_dwordx2 v[2:3], v57, s[8:9] offset:504
	s_waitcnt vmcnt(0)
	v_mul_f32_e32 v48, v51, v3
	v_mul_f32_e32 v49, v50, v3
	v_fma_f32 v48, v50, v2, -v48
	v_fmac_f32_e32 v49, v51, v2
	global_load_dwordx2 v[2:3], v57, s[8:9] offset:672
	ds_write2_b64 v61, v[8:9], v[48:49] offset0:42 offset1:63
	ds_read2_b64 v[48:51], v61 offset0:84 offset1:105
	s_waitcnt vmcnt(0) lgkmcnt(0)
	v_mul_f32_e32 v8, v49, v3
	v_mul_f32_e32 v9, v48, v3
	v_fma_f32 v8, v48, v2, -v8
	v_fmac_f32_e32 v9, v49, v2
	global_load_dwordx2 v[2:3], v57, s[8:9] offset:840
	s_waitcnt vmcnt(0)
	v_mul_f32_e32 v48, v51, v3
	v_mul_f32_e32 v49, v50, v3
	v_fma_f32 v48, v50, v2, -v48
	v_fmac_f32_e32 v49, v51, v2
	global_load_dwordx2 v[2:3], v57, s[8:9] offset:1008
	ds_write2_b64 v61, v[8:9], v[48:49] offset0:84 offset1:105
	;; [unrolled: 14-line block ×3, first 2 shown]
	ds_read2_b64 v[48:51], v61 offset0:168 offset1:189
	s_waitcnt vmcnt(0) lgkmcnt(0)
	v_mul_f32_e32 v8, v49, v3
	v_mul_f32_e32 v9, v48, v3
	v_fma_f32 v8, v48, v2, -v8
	v_fmac_f32_e32 v9, v49, v2
	global_load_dwordx2 v[2:3], v57, s[8:9] offset:1512
	s_waitcnt vmcnt(0)
	v_mul_f32_e32 v48, v51, v3
	v_mul_f32_e32 v49, v50, v3
	v_fma_f32 v48, v50, v2, -v48
	v_fmac_f32_e32 v49, v51, v2
	ds_write2_b64 v61, v[8:9], v[48:49] offset0:168 offset1:189
.LBB0_13:
	s_or_b64 exec, exec, s[2:3]
	s_waitcnt lgkmcnt(0)
	; wave barrier
	s_waitcnt lgkmcnt(0)
	s_and_saveexec_b64 s[2:3], vcc
	s_cbranch_execz .LBB0_15
; %bb.14:
	ds_read2_b64 v[36:39], v61 offset1:21
	ds_read2_b64 v[40:43], v61 offset0:42 offset1:63
	ds_read2_b64 v[0:3], v61 offset0:168 offset1:189
	;; [unrolled: 1-line block ×4, first 2 shown]
	s_waitcnt lgkmcnt(2)
	v_mov_b32_e32 v10, v2
	v_mov_b32_e32 v11, v3
.LBB0_15:
	s_or_b64 exec, exec, s[2:3]
	v_add_f32_e32 v2, v0, v40
	v_fma_f32 v3, -0.5, v2, v36
	s_waitcnt lgkmcnt(0)
	v_sub_f32_e32 v8, v33, v45
	v_mov_b32_e32 v2, v3
	v_sub_f32_e32 v48, v32, v40
	v_sub_f32_e32 v49, v44, v0
	;; [unrolled: 1-line block ×3, first 2 shown]
	v_fmac_f32_e32 v2, 0x3f737871, v8
	v_add_f32_e32 v48, v49, v48
	v_fmac_f32_e32 v3, 0xbf737871, v8
	v_add_f32_e32 v49, v1, v41
	v_fmac_f32_e32 v2, 0xbf167918, v9
	v_fmac_f32_e32 v3, 0x3f167918, v9
	v_fma_f32 v65, -0.5, v49, v37
	v_fmac_f32_e32 v2, 0x3e9e377a, v48
	v_fmac_f32_e32 v3, 0x3e9e377a, v48
	v_sub_f32_e32 v48, v32, v44
	v_mov_b32_e32 v64, v65
	v_sub_f32_e32 v53, v40, v0
	v_fmac_f32_e32 v64, 0xbf737871, v48
	v_sub_f32_e32 v49, v33, v41
	v_sub_f32_e32 v50, v45, v1
	v_fmac_f32_e32 v65, 0x3f737871, v48
	v_fmac_f32_e32 v64, 0x3f167918, v53
	v_add_f32_e32 v49, v50, v49
	v_fmac_f32_e32 v65, 0xbf167918, v53
	v_fmac_f32_e32 v64, 0x3e9e377a, v49
	;; [unrolled: 1-line block ×3, first 2 shown]
	v_add_f32_e32 v49, v42, v10
	v_fma_f32 v49, -0.5, v49, v38
	v_sub_f32_e32 v70, v35, v47
	v_mov_b32_e32 v50, v49
	v_sub_f32_e32 v71, v43, v11
	v_fmac_f32_e32 v50, 0x3f737871, v70
	v_sub_f32_e32 v51, v34, v42
	v_sub_f32_e32 v52, v46, v10
	v_fmac_f32_e32 v49, 0xbf737871, v70
	v_fmac_f32_e32 v50, 0xbf167918, v71
	v_add_f32_e32 v51, v51, v52
	v_fmac_f32_e32 v49, 0x3f167918, v71
	v_fmac_f32_e32 v50, 0x3e9e377a, v51
	;; [unrolled: 1-line block ×3, first 2 shown]
	v_add_f32_e32 v51, v43, v11
	v_fma_f32 v51, -0.5, v51, v39
	v_sub_f32_e32 v72, v34, v46
	v_mov_b32_e32 v52, v51
	v_sub_f32_e32 v73, v42, v10
	v_fmac_f32_e32 v52, 0xbf737871, v72
	v_sub_f32_e32 v54, v35, v43
	v_sub_f32_e32 v66, v47, v11
	v_fmac_f32_e32 v51, 0x3f737871, v72
	v_fmac_f32_e32 v52, 0x3f167918, v73
	v_add_f32_e32 v54, v54, v66
	v_fmac_f32_e32 v51, 0xbf167918, v73
	v_fmac_f32_e32 v52, 0x3e9e377a, v54
	;; [unrolled: 1-line block ×3, first 2 shown]
	v_mul_f32_e32 v66, 0xbf737871, v52
	v_mul_f32_e32 v67, 0xbf737871, v51
	;; [unrolled: 1-line block ×4, first 2 shown]
	v_fmac_f32_e32 v66, 0x3e9e377a, v50
	v_fmac_f32_e32 v67, 0xbe9e377a, v49
	;; [unrolled: 1-line block ×4, first 2 shown]
	v_sub_f32_e32 v49, v2, v66
	v_sub_f32_e32 v51, v3, v67
	;; [unrolled: 1-line block ×4, first 2 shown]
	s_waitcnt lgkmcnt(0)
	; wave barrier
	s_and_saveexec_b64 s[2:3], vcc
	s_cbranch_execz .LBB0_17
; %bb.16:
	v_sub_f32_e32 v54, v41, v33
	v_sub_f32_e32 v74, v1, v45
	v_add_f32_e32 v74, v74, v54
	v_add_f32_e32 v54, v45, v33
	v_fma_f32 v75, -0.5, v54, v37
	v_add_f32_e32 v37, v41, v37
	v_add_f32_e32 v33, v33, v37
	v_add_f32_e32 v33, v45, v33
	v_sub_f32_e32 v54, v42, v34
	v_sub_f32_e32 v77, v10, v46
	v_add_f32_e32 v1, v1, v33
	v_add_f32_e32 v33, v43, v39
	;; [unrolled: 1-line block ×5, first 2 shown]
	v_fma_f32 v78, -0.5, v54, v38
	v_sub_f32_e32 v54, v43, v35
	v_sub_f32_e32 v80, v11, v47
	v_add_f32_e32 v33, v47, v33
	v_add_f32_e32 v80, v54, v80
	;; [unrolled: 1-line block ×4, first 2 shown]
	v_sub_f32_e32 v33, v40, v32
	v_sub_f32_e32 v35, v0, v44
	v_add_f32_e32 v33, v35, v33
	v_add_f32_e32 v35, v44, v32
	v_fma_f32 v41, -0.5, v35, v36
	v_mov_b32_e32 v43, v41
	v_fmac_f32_e32 v43, 0x3f737871, v9
	v_fmac_f32_e32 v41, 0xbf737871, v9
	v_fmac_f32_e32 v43, 0x3f167918, v8
	v_fmac_f32_e32 v41, 0xbf167918, v8
	v_add_f32_e32 v8, v40, v36
	v_fma_f32 v81, -0.5, v54, v39
	v_add_f32_e32 v8, v32, v8
	v_mov_b32_e32 v82, v81
	v_fmac_f32_e32 v81, 0x3f737871, v73
	v_add_f32_e32 v8, v44, v8
	v_mov_b32_e32 v79, v78
	v_fmac_f32_e32 v82, 0xbf737871, v73
	v_fmac_f32_e32 v78, 0xbf737871, v71
	;; [unrolled: 1-line block ×3, first 2 shown]
	v_add_f32_e32 v0, v0, v8
	v_add_f32_e32 v8, v42, v38
	v_mov_b32_e32 v76, v75
	v_fmac_f32_e32 v79, 0x3f737871, v71
	v_fmac_f32_e32 v82, 0xbf167918, v72
	;; [unrolled: 1-line block ×5, first 2 shown]
	v_add_f32_e32 v8, v34, v8
	v_fmac_f32_e32 v76, 0xbf737871, v53
	v_fmac_f32_e32 v79, 0x3f167918, v70
	;; [unrolled: 1-line block ×5, first 2 shown]
	v_mul_f32_e32 v70, 0x3f4f1bbd, v81
	v_mul_f32_e32 v71, 0xbf167918, v81
	v_add_f32_e32 v8, v46, v8
	v_fmac_f32_e32 v76, 0xbf167918, v48
	v_fmac_f32_e32 v79, 0x3e9e377a, v77
	v_mul_f32_e32 v83, 0xbf4f1bbd, v82
	v_fmac_f32_e32 v75, 0x3e9e377a, v74
	v_fmac_f32_e32 v70, 0x3f167918, v78
	v_mul_f32_e32 v45, 0xbf167918, v82
	v_fmac_f32_e32 v41, 0x3e9e377a, v33
	v_fmac_f32_e32 v71, 0x3f4f1bbd, v78
	v_add_f32_e32 v36, v10, v8
	v_fmac_f32_e32 v76, 0x3e9e377a, v74
	v_fmac_f32_e32 v83, 0x3f167918, v79
	v_sub_f32_e32 v11, v1, v37
	v_fmac_f32_e32 v43, 0x3e9e377a, v33
	v_fmac_f32_e32 v45, 0xbf4f1bbd, v79
	v_sub_f32_e32 v10, v0, v36
	v_add_f32_e32 v39, v75, v70
	v_add_f32_e32 v37, v37, v1
	;; [unrolled: 1-line block ×4, first 2 shown]
	v_lshl_add_u32 v0, v62, 3, v59
	v_sub_f32_e32 v54, v76, v83
	v_sub_f32_e32 v48, v75, v70
	v_sub_f32_e32 v53, v43, v45
	v_sub_f32_e32 v47, v41, v71
	v_add_f32_e32 v9, v76, v83
	v_add_f32_e32 v35, v65, v69
	;; [unrolled: 1-line block ×6, first 2 shown]
	ds_write_b128 v0, v[36:39]
	ds_write_b128 v0, v[32:35] offset:16
	ds_write_b128 v0, v[8:11] offset:32
	;; [unrolled: 1-line block ×4, first 2 shown]
.LBB0_17:
	s_or_b64 exec, exec, s[2:3]
	s_waitcnt lgkmcnt(0)
	; wave barrier
	s_waitcnt lgkmcnt(0)
	ds_read2_b64 v[0:3], v60 offset1:30
	ds_read2_b64 v[8:11], v60 offset0:60 offset1:90
	ds_read2_b64 v[32:35], v60 offset0:120 offset1:150
	ds_read_b64 v[36:37], v60 offset:1440
	s_mov_b32 s3, 0x3f3bfb3b
	s_waitcnt lgkmcnt(3)
	v_mul_f32_e32 v38, v17, v3
	v_fmac_f32_e32 v38, v16, v2
	v_mul_f32_e32 v2, v17, v2
	v_fma_f32 v2, v16, v3, -v2
	s_waitcnt lgkmcnt(2)
	v_mul_f32_e32 v3, v19, v9
	v_fmac_f32_e32 v3, v18, v8
	v_mul_f32_e32 v8, v19, v8
	v_fma_f32 v8, v18, v9, -v8
	v_mul_f32_e32 v9, v13, v11
	v_fmac_f32_e32 v9, v12, v10
	v_mul_f32_e32 v10, v13, v10
	s_waitcnt lgkmcnt(1)
	v_mul_f32_e32 v13, v5, v35
	v_mul_f32_e32 v5, v5, v34
	v_fmac_f32_e32 v13, v4, v34
	v_fma_f32 v4, v4, v35, -v5
	s_waitcnt lgkmcnt(0)
	v_mul_f32_e32 v5, v7, v37
	v_mul_f32_e32 v7, v7, v36
	v_fma_f32 v10, v12, v11, -v10
	v_mul_f32_e32 v11, v15, v33
	v_mul_f32_e32 v12, v15, v32
	v_fmac_f32_e32 v5, v6, v36
	v_fma_f32 v6, v6, v37, -v7
	v_fmac_f32_e32 v11, v14, v32
	v_fma_f32 v12, v14, v33, -v12
	v_add_f32_e32 v7, v38, v5
	v_add_f32_e32 v14, v2, v6
	v_sub_f32_e32 v2, v2, v6
	v_add_f32_e32 v6, v3, v13
	v_add_f32_e32 v15, v8, v4
	v_sub_f32_e32 v4, v8, v4
	v_add_f32_e32 v8, v9, v11
	v_sub_f32_e32 v9, v11, v9
	;; [unrolled: 2-line block ×5, first 2 shown]
	v_sub_f32_e32 v7, v7, v8
	v_sub_f32_e32 v6, v8, v6
	v_add_f32_e32 v8, v8, v11
	v_add_f32_e32 v11, v13, v12
	;; [unrolled: 1-line block ×3, first 2 shown]
	v_sub_f32_e32 v17, v15, v14
	v_sub_f32_e32 v14, v14, v13
	;; [unrolled: 1-line block ×3, first 2 shown]
	v_add_f32_e32 v1, v1, v11
	v_mov_b32_e32 v34, v0
	v_sub_f32_e32 v5, v38, v5
	v_add_f32_e32 v18, v9, v3
	v_add_f32_e32 v19, v10, v4
	v_sub_f32_e32 v32, v9, v3
	v_sub_f32_e32 v33, v10, v4
	v_mul_f32_e32 v12, 0x3f4a47b2, v14
	v_mul_f32_e32 v13, 0x3d64c772, v6
	;; [unrolled: 1-line block ×3, first 2 shown]
	v_fmac_f32_e32 v34, 0xbf955555, v8
	v_mov_b32_e32 v8, v1
	v_sub_f32_e32 v9, v5, v9
	v_sub_f32_e32 v10, v2, v10
	;; [unrolled: 1-line block ×4, first 2 shown]
	v_add_f32_e32 v5, v18, v5
	v_add_f32_e32 v2, v19, v2
	v_mul_f32_e32 v7, 0x3f4a47b2, v7
	v_mul_f32_e32 v18, 0x3f08b237, v32
	;; [unrolled: 1-line block ×3, first 2 shown]
	s_mov_b32 s2, 0xbf5ff5aa
	v_fmac_f32_e32 v8, 0xbf955555, v11
	v_fma_f32 v11, v16, s3, -v13
	v_fma_f32 v13, v17, s3, -v14
	s_mov_b32 s3, 0xbf3bfb3b
	v_mul_f32_e32 v32, 0xbf5ff5aa, v3
	v_mul_f32_e32 v33, 0xbf5ff5aa, v4
	v_fma_f32 v14, v16, s3, -v7
	v_fmac_f32_e32 v7, 0x3d64c772, v6
	v_fma_f32 v6, v17, s3, -v12
	v_fmac_f32_e32 v12, 0x3d64c772, v15
	v_fma_f32 v15, v3, s2, -v18
	v_fma_f32 v16, v4, s2, -v19
	s_mov_b32 s2, 0x3eae86e6
	v_fmac_f32_e32 v18, 0xbeae86e6, v9
	v_fmac_f32_e32 v19, 0xbeae86e6, v10
	v_fma_f32 v17, v9, s2, -v32
	v_fma_f32 v10, v10, s2, -v33
	v_add_f32_e32 v32, v7, v34
	v_add_f32_e32 v12, v12, v8
	;; [unrolled: 1-line block ×6, first 2 shown]
	v_fmac_f32_e32 v18, 0xbee1c552, v5
	v_fmac_f32_e32 v19, 0xbee1c552, v2
	v_fmac_f32_e32 v15, 0xbee1c552, v5
	v_fmac_f32_e32 v16, 0xbee1c552, v2
	v_fmac_f32_e32 v17, 0xbee1c552, v5
	v_fmac_f32_e32 v10, 0xbee1c552, v2
	v_add_f32_e32 v2, v19, v32
	v_sub_f32_e32 v3, v12, v18
	v_add_f32_e32 v4, v10, v13
	v_sub_f32_e32 v5, v14, v17
	v_sub_f32_e32 v6, v9, v16
	v_add_f32_e32 v7, v15, v11
	v_add_f32_e32 v8, v16, v9
	v_sub_f32_e32 v9, v11, v15
	v_sub_f32_e32 v10, v13, v10
	v_add_f32_e32 v11, v17, v14
	v_sub_f32_e32 v47, v32, v19
	v_add_f32_e32 v48, v18, v12
	s_waitcnt lgkmcnt(0)
	; wave barrier
	ds_write2_b64 v63, v[0:1], v[2:3] offset1:10
	ds_write2_b64 v63, v[4:5], v[6:7] offset0:20 offset1:30
	ds_write2_b64 v63, v[8:9], v[10:11] offset0:40 offset1:50
	ds_write_b64 v63, v[47:48] offset:480
	s_waitcnt lgkmcnt(0)
	; wave barrier
	s_waitcnt lgkmcnt(0)
	ds_read2_b64 v[0:3], v60 offset1:30
	ds_read2_b64 v[8:11], v60 offset0:70 offset1:100
	ds_read2_b64 v[4:7], v60 offset0:140 offset1:170
	s_and_saveexec_b64 s[2:3], s[0:1]
	s_cbranch_execz .LBB0_19
; %bb.18:
	ds_read2_b64 v[47:50], v60 offset0:60 offset1:130
	ds_read_b64 v[51:52], v60 offset:1600
.LBB0_19:
	s_or_b64 exec, exec, s[2:3]
	s_waitcnt lgkmcnt(1)
	v_mul_f32_e32 v12, v25, v9
	v_fmac_f32_e32 v12, v24, v8
	v_mul_f32_e32 v8, v25, v8
	v_fma_f32 v8, v24, v9, -v8
	s_waitcnt lgkmcnt(0)
	v_mul_f32_e32 v9, v27, v5
	v_fmac_f32_e32 v9, v26, v4
	v_mul_f32_e32 v4, v27, v4
	v_fma_f32 v13, v26, v5, -v4
	v_mul_f32_e32 v4, v29, v10
	v_mul_f32_e32 v14, v29, v11
	v_fma_f32 v11, v28, v11, -v4
	v_mul_f32_e32 v4, v31, v6
	v_add_f32_e32 v5, v12, v9
	v_mul_f32_e32 v15, v31, v7
	v_fma_f32 v16, v30, v7, -v4
	v_add_f32_e32 v4, v0, v12
	v_fma_f32 v0, -0.5, v5, v0
	v_fmac_f32_e32 v15, v30, v6
	v_sub_f32_e32 v5, v8, v13
	v_mov_b32_e32 v6, v0
	v_add_f32_e32 v7, v8, v13
	v_fmac_f32_e32 v14, v28, v10
	v_fmac_f32_e32 v6, 0xbf5db3d7, v5
	;; [unrolled: 1-line block ×3, first 2 shown]
	v_add_f32_e32 v5, v1, v8
	v_fma_f32 v1, -0.5, v7, v1
	v_add_f32_e32 v4, v4, v9
	v_sub_f32_e32 v8, v12, v9
	v_mov_b32_e32 v7, v1
	v_add_f32_e32 v9, v14, v15
	v_fmac_f32_e32 v7, 0x3f5db3d7, v8
	v_fmac_f32_e32 v1, 0xbf5db3d7, v8
	v_add_f32_e32 v8, v2, v14
	v_fma_f32 v2, -0.5, v9, v2
	v_sub_f32_e32 v9, v11, v16
	v_mov_b32_e32 v10, v2
	v_fmac_f32_e32 v10, 0xbf5db3d7, v9
	v_fmac_f32_e32 v2, 0x3f5db3d7, v9
	v_add_f32_e32 v9, v3, v11
	v_add_f32_e32 v11, v11, v16
	v_fmac_f32_e32 v3, -0.5, v11
	v_add_f32_e32 v5, v5, v13
	v_add_f32_e32 v8, v8, v15
	;; [unrolled: 1-line block ×3, first 2 shown]
	v_sub_f32_e32 v12, v14, v15
	v_mov_b32_e32 v11, v3
	v_fmac_f32_e32 v11, 0x3f5db3d7, v12
	v_fmac_f32_e32 v3, 0xbf5db3d7, v12
	ds_write2_b64 v61, v[4:5], v[8:9] offset1:30
	ds_write2_b64 v61, v[6:7], v[10:11] offset0:70 offset1:100
	ds_write2_b64 v61, v[0:1], v[2:3] offset0:140 offset1:170
	s_and_saveexec_b64 s[2:3], s[0:1]
	s_cbranch_execz .LBB0_21
; %bb.20:
	v_mul_f32_e32 v0, v21, v49
	v_fma_f32 v2, v20, v50, -v0
	v_mul_f32_e32 v0, v23, v51
	v_fma_f32 v4, v22, v52, -v0
	v_add_f32_e32 v0, v2, v4
	v_mul_f32_e32 v6, v21, v50
	v_mul_f32_e32 v7, v23, v52
	v_fma_f32 v1, -0.5, v0, v48
	v_fmac_f32_e32 v6, v20, v49
	v_fmac_f32_e32 v7, v22, v51
	v_sub_f32_e32 v0, v6, v7
	v_mov_b32_e32 v3, v1
	v_fmac_f32_e32 v3, 0xbf5db3d7, v0
	v_fmac_f32_e32 v1, 0x3f5db3d7, v0
	v_add_f32_e32 v0, v48, v2
	v_add_f32_e32 v5, v0, v4
	;; [unrolled: 1-line block ×3, first 2 shown]
	v_fma_f32 v0, -0.5, v0, v47
	v_sub_f32_e32 v4, v2, v4
	v_mov_b32_e32 v2, v0
	v_fmac_f32_e32 v2, 0x3f5db3d7, v4
	v_fmac_f32_e32 v0, 0xbf5db3d7, v4
	v_add_f32_e32 v4, v47, v6
	v_add_f32_e32 v4, v4, v7
	ds_write2_b64 v61, v[4:5], v[0:1] offset0:60 offset1:130
	ds_write_b64 v61, v[2:3] offset:1600
.LBB0_21:
	s_or_b64 exec, exec, s[2:3]
	s_waitcnt lgkmcnt(0)
	; wave barrier
	s_waitcnt lgkmcnt(0)
	s_and_b64 exec, exec, vcc
	s_cbranch_execz .LBB0_23
; %bb.22:
	global_load_dwordx2 v[8:9], v57, s[14:15]
	global_load_dwordx2 v[10:11], v57, s[14:15] offset:168
	global_load_dwordx2 v[12:13], v57, s[14:15] offset:336
	;; [unrolled: 1-line block ×9, first 2 shown]
	v_mad_u64_u32 v[18:19], s[0:1], s6, v55, 0
	v_mad_u64_u32 v[20:21], s[2:3], s4, v56, 0
	s_mul_i32 s3, s5, 0xa8
	s_mul_hi_u32 s6, s4, 0xa8
	s_add_i32 s3, s6, s3
	v_mad_u64_u32 v[36:37], s[6:7], s7, v55, v[19:20]
	s_mul_i32 s2, s4, 0xa8
	v_mov_b32_e32 v39, s13
	v_mov_b32_e32 v19, v36
	v_lshlrev_b64 v[18:19], 3, v[18:19]
	v_lshl_add_u32 v40, v58, 3, v57
	v_add_co_u32_e32 v18, vcc, s12, v18
	v_addc_co_u32_e32 v19, vcc, v39, v19, vcc
	ds_read2_b64 v[0:3], v40 offset0:21 offset1:42
	ds_read2_b64 v[4:7], v40 offset0:63 offset1:84
	ds_read_b64 v[32:33], v61
	ds_read_b64 v[34:35], v40 offset:1512
	v_mov_b32_e32 v41, s3
	s_mov_b32 s0, 0x13813814
	s_mov_b32 s1, 0x3f738138
	v_mov_b32_e32 v42, s3
	s_waitcnt vmcnt(4)
	v_mad_u64_u32 v[37:38], s[4:5], s5, v56, v[21:22]
	v_mov_b32_e32 v38, s3
	s_waitcnt lgkmcnt(3)
	v_mul_f32_e32 v39, v1, v11
	v_mov_b32_e32 v21, v37
	v_lshlrev_b64 v[20:21], 3, v[20:21]
	v_mul_f32_e32 v11, v0, v11
	v_add_co_u32_e32 v18, vcc, v18, v20
	v_addc_co_u32_e32 v19, vcc, v19, v21, vcc
	v_add_co_u32_e32 v20, vcc, s2, v18
	v_addc_co_u32_e32 v21, vcc, v19, v41, vcc
	;; [unrolled: 2-line block ×3, first 2 shown]
	s_waitcnt lgkmcnt(1)
	v_mul_f32_e32 v38, v33, v9
	v_mul_f32_e32 v9, v32, v9
	;; [unrolled: 1-line block ×4, first 2 shown]
	v_fmac_f32_e32 v38, v32, v8
	v_fma_f32 v8, v8, v33, -v9
	v_mul_f32_e32 v43, v5, v15
	v_mul_f32_e32 v15, v4, v15
	v_fmac_f32_e32 v39, v0, v10
	v_fma_f32 v9, v10, v1, -v11
	v_fmac_f32_e32 v41, v2, v12
	v_fma_f32 v12, v12, v3, -v13
	v_cvt_f64_f32_e32 v[0:1], v38
	v_cvt_f64_f32_e32 v[2:3], v8
	v_fmac_f32_e32 v43, v4, v14
	v_fma_f32 v32, v14, v5, -v15
	v_cvt_f64_f32_e32 v[4:5], v39
	v_cvt_f64_f32_e32 v[8:9], v9
	;; [unrolled: 1-line block ×4, first 2 shown]
	v_mul_f64 v[0:1], v[0:1], s[0:1]
	v_mul_f64 v[2:3], v[2:3], s[0:1]
	;; [unrolled: 1-line block ×6, first 2 shown]
	v_cvt_f64_f32_e32 v[14:15], v43
	v_cvt_f64_f32_e32 v[32:33], v32
	v_cvt_f32_f64_e32 v0, v[0:1]
	v_cvt_f32_f64_e32 v1, v[2:3]
	v_mul_f64 v[14:15], v[14:15], s[0:1]
	v_mul_f64 v[32:33], v[32:33], s[0:1]
	v_cvt_f32_f64_e32 v2, v[4:5]
	v_cvt_f32_f64_e32 v3, v[8:9]
	;; [unrolled: 1-line block ×4, first 2 shown]
	global_store_dwordx2 v[18:19], v[0:1], off
	global_store_dwordx2 v[20:21], v[2:3], off
	;; [unrolled: 1-line block ×3, first 2 shown]
	v_mul_f32_e32 v0, v6, v17
	v_mul_f32_e32 v44, v7, v17
	v_fma_f32 v0, v16, v7, -v0
	v_fmac_f32_e32 v44, v6, v16
	v_cvt_f64_f32_e32 v[6:7], v0
	ds_read2_b64 v[0:3], v40 offset0:105 offset1:126
	v_cvt_f32_f64_e32 v8, v[14:15]
	v_cvt_f32_f64_e32 v9, v[32:33]
	v_cvt_f64_f32_e32 v[4:5], v44
	v_add_co_u32_e32 v10, vcc, s2, v36
	v_addc_co_u32_e32 v11, vcc, v37, v42, vcc
	global_store_dwordx2 v[10:11], v[8:9], off
	s_waitcnt lgkmcnt(0)
	v_mul_f32_e32 v8, v1, v23
	v_mul_f64 v[4:5], v[4:5], s[0:1]
	v_mul_f64 v[6:7], v[6:7], s[0:1]
	v_fmac_f32_e32 v8, v0, v22
	v_mul_f32_e32 v0, v0, v23
	v_fma_f32 v0, v22, v1, -v0
	v_cvt_f64_f32_e32 v[0:1], v0
	v_cvt_f64_f32_e32 v[8:9], v8
	v_mov_b32_e32 v12, s3
	v_cvt_f32_f64_e32 v4, v[4:5]
	v_mul_f64 v[0:1], v[0:1], s[0:1]
	v_cvt_f32_f64_e32 v5, v[6:7]
	v_mul_f64 v[6:7], v[8:9], s[0:1]
	v_mov_b32_e32 v9, s3
	v_add_co_u32_e32 v8, vcc, s2, v10
	v_addc_co_u32_e32 v9, vcc, v11, v9, vcc
	global_store_dwordx2 v[8:9], v[4:5], off
	v_cvt_f32_f64_e32 v5, v[0:1]
	s_waitcnt vmcnt(8)
	v_mul_f32_e32 v0, v3, v25
	v_fmac_f32_e32 v0, v2, v24
	v_cvt_f32_f64_e32 v4, v[6:7]
	v_cvt_f64_f32_e32 v[6:7], v0
	v_mul_f32_e32 v0, v2, v25
	v_fma_f32 v0, v24, v3, -v0
	v_cvt_f64_f32_e32 v[10:11], v0
	ds_read2_b64 v[0:3], v40 offset0:147 offset1:168
	v_add_co_u32_e32 v8, vcc, s2, v8
	v_addc_co_u32_e32 v9, vcc, v9, v12, vcc
	global_store_dwordx2 v[8:9], v[4:5], off
	v_mul_f64 v[4:5], v[6:7], s[0:1]
	v_mul_f64 v[6:7], v[10:11], s[0:1]
	s_waitcnt vmcnt(8) lgkmcnt(0)
	v_mul_f32_e32 v10, v1, v27
	v_fmac_f32_e32 v10, v0, v26
	v_mul_f32_e32 v0, v0, v27
	v_fma_f32 v0, v26, v1, -v0
	v_cvt_f64_f32_e32 v[0:1], v0
	v_cvt_f64_f32_e32 v[10:11], v10
	v_cvt_f32_f64_e32 v4, v[4:5]
	v_cvt_f32_f64_e32 v5, v[6:7]
	v_mul_f64 v[0:1], v[0:1], s[0:1]
	v_mul_f64 v[6:7], v[10:11], s[0:1]
	v_mov_b32_e32 v10, s3
	v_add_co_u32_e32 v8, vcc, s2, v8
	v_addc_co_u32_e32 v9, vcc, v9, v10, vcc
	global_store_dwordx2 v[8:9], v[4:5], off
	v_cvt_f32_f64_e32 v5, v[0:1]
	s_waitcnt vmcnt(8)
	v_mul_f32_e32 v0, v3, v29
	v_fmac_f32_e32 v0, v2, v28
	v_mul_f32_e32 v2, v2, v29
	v_fma_f32 v2, v28, v3, -v2
	v_cvt_f64_f32_e32 v[0:1], v0
	v_cvt_f64_f32_e32 v[2:3], v2
	v_cvt_f32_f64_e32 v4, v[6:7]
	v_mov_b32_e32 v7, s3
	v_add_co_u32_e32 v6, vcc, s2, v8
	v_mul_f64 v[0:1], v[0:1], s[0:1]
	v_mul_f64 v[2:3], v[2:3], s[0:1]
	v_addc_co_u32_e32 v7, vcc, v9, v7, vcc
	global_store_dwordx2 v[6:7], v[4:5], off
	s_waitcnt vmcnt(8)
	v_mul_f32_e32 v4, v35, v31
	v_mul_f32_e32 v8, v34, v31
	v_fmac_f32_e32 v4, v34, v30
	v_fma_f32 v8, v30, v35, -v8
	v_cvt_f64_f32_e32 v[4:5], v4
	v_cvt_f64_f32_e32 v[8:9], v8
	v_cvt_f32_f64_e32 v0, v[0:1]
	v_cvt_f32_f64_e32 v1, v[2:3]
	v_mul_f64 v[2:3], v[4:5], s[0:1]
	v_mul_f64 v[4:5], v[8:9], s[0:1]
	v_mov_b32_e32 v8, s3
	v_add_co_u32_e32 v6, vcc, s2, v6
	v_addc_co_u32_e32 v7, vcc, v7, v8, vcc
	global_store_dwordx2 v[6:7], v[0:1], off
	v_cvt_f32_f64_e32 v0, v[2:3]
	v_cvt_f32_f64_e32 v1, v[4:5]
	v_mov_b32_e32 v3, s3
	v_add_co_u32_e32 v2, vcc, s2, v6
	v_addc_co_u32_e32 v3, vcc, v7, v3, vcc
	global_store_dwordx2 v[2:3], v[0:1], off
.LBB0_23:
	s_endpgm
	.section	.rodata,"a",@progbits
	.p2align	6, 0x0
	.amdhsa_kernel bluestein_single_back_len210_dim1_sp_op_CI_CI
		.amdhsa_group_segment_fixed_size 3360
		.amdhsa_private_segment_fixed_size 0
		.amdhsa_kernarg_size 104
		.amdhsa_user_sgpr_count 6
		.amdhsa_user_sgpr_private_segment_buffer 1
		.amdhsa_user_sgpr_dispatch_ptr 0
		.amdhsa_user_sgpr_queue_ptr 0
		.amdhsa_user_sgpr_kernarg_segment_ptr 1
		.amdhsa_user_sgpr_dispatch_id 0
		.amdhsa_user_sgpr_flat_scratch_init 0
		.amdhsa_user_sgpr_private_segment_size 0
		.amdhsa_uses_dynamic_stack 0
		.amdhsa_system_sgpr_private_segment_wavefront_offset 0
		.amdhsa_system_sgpr_workgroup_id_x 1
		.amdhsa_system_sgpr_workgroup_id_y 0
		.amdhsa_system_sgpr_workgroup_id_z 0
		.amdhsa_system_sgpr_workgroup_info 0
		.amdhsa_system_vgpr_workitem_id 0
		.amdhsa_next_free_vgpr 84
		.amdhsa_next_free_sgpr 16
		.amdhsa_reserve_vcc 1
		.amdhsa_reserve_flat_scratch 0
		.amdhsa_float_round_mode_32 0
		.amdhsa_float_round_mode_16_64 0
		.amdhsa_float_denorm_mode_32 3
		.amdhsa_float_denorm_mode_16_64 3
		.amdhsa_dx10_clamp 1
		.amdhsa_ieee_mode 1
		.amdhsa_fp16_overflow 0
		.amdhsa_exception_fp_ieee_invalid_op 0
		.amdhsa_exception_fp_denorm_src 0
		.amdhsa_exception_fp_ieee_div_zero 0
		.amdhsa_exception_fp_ieee_overflow 0
		.amdhsa_exception_fp_ieee_underflow 0
		.amdhsa_exception_fp_ieee_inexact 0
		.amdhsa_exception_int_div_zero 0
	.end_amdhsa_kernel
	.text
.Lfunc_end0:
	.size	bluestein_single_back_len210_dim1_sp_op_CI_CI, .Lfunc_end0-bluestein_single_back_len210_dim1_sp_op_CI_CI
                                        ; -- End function
	.section	.AMDGPU.csdata,"",@progbits
; Kernel info:
; codeLenInByte = 7164
; NumSgprs: 20
; NumVgprs: 84
; ScratchSize: 0
; MemoryBound: 0
; FloatMode: 240
; IeeeMode: 1
; LDSByteSize: 3360 bytes/workgroup (compile time only)
; SGPRBlocks: 2
; VGPRBlocks: 20
; NumSGPRsForWavesPerEU: 20
; NumVGPRsForWavesPerEU: 84
; Occupancy: 3
; WaveLimiterHint : 1
; COMPUTE_PGM_RSRC2:SCRATCH_EN: 0
; COMPUTE_PGM_RSRC2:USER_SGPR: 6
; COMPUTE_PGM_RSRC2:TRAP_HANDLER: 0
; COMPUTE_PGM_RSRC2:TGID_X_EN: 1
; COMPUTE_PGM_RSRC2:TGID_Y_EN: 0
; COMPUTE_PGM_RSRC2:TGID_Z_EN: 0
; COMPUTE_PGM_RSRC2:TIDIG_COMP_CNT: 0
	.type	__hip_cuid_ec81826e4ea906c,@object ; @__hip_cuid_ec81826e4ea906c
	.section	.bss,"aw",@nobits
	.globl	__hip_cuid_ec81826e4ea906c
__hip_cuid_ec81826e4ea906c:
	.byte	0                               ; 0x0
	.size	__hip_cuid_ec81826e4ea906c, 1

	.ident	"AMD clang version 19.0.0git (https://github.com/RadeonOpenCompute/llvm-project roc-6.4.0 25133 c7fe45cf4b819c5991fe208aaa96edf142730f1d)"
	.section	".note.GNU-stack","",@progbits
	.addrsig
	.addrsig_sym __hip_cuid_ec81826e4ea906c
	.amdgpu_metadata
---
amdhsa.kernels:
  - .args:
      - .actual_access:  read_only
        .address_space:  global
        .offset:         0
        .size:           8
        .value_kind:     global_buffer
      - .actual_access:  read_only
        .address_space:  global
        .offset:         8
        .size:           8
        .value_kind:     global_buffer
      - .actual_access:  read_only
        .address_space:  global
        .offset:         16
        .size:           8
        .value_kind:     global_buffer
      - .actual_access:  read_only
        .address_space:  global
        .offset:         24
        .size:           8
        .value_kind:     global_buffer
      - .actual_access:  read_only
        .address_space:  global
        .offset:         32
        .size:           8
        .value_kind:     global_buffer
      - .offset:         40
        .size:           8
        .value_kind:     by_value
      - .address_space:  global
        .offset:         48
        .size:           8
        .value_kind:     global_buffer
      - .address_space:  global
        .offset:         56
        .size:           8
        .value_kind:     global_buffer
      - .address_space:  global
        .offset:         64
        .size:           8
        .value_kind:     global_buffer
      - .address_space:  global
        .offset:         72
        .size:           8
        .value_kind:     global_buffer
      - .offset:         80
        .size:           4
        .value_kind:     by_value
      - .address_space:  global
        .offset:         88
        .size:           8
        .value_kind:     global_buffer
      - .address_space:  global
        .offset:         96
        .size:           8
        .value_kind:     global_buffer
    .group_segment_fixed_size: 3360
    .kernarg_segment_align: 8
    .kernarg_segment_size: 104
    .language:       OpenCL C
    .language_version:
      - 2
      - 0
    .max_flat_workgroup_size: 60
    .name:           bluestein_single_back_len210_dim1_sp_op_CI_CI
    .private_segment_fixed_size: 0
    .sgpr_count:     20
    .sgpr_spill_count: 0
    .symbol:         bluestein_single_back_len210_dim1_sp_op_CI_CI.kd
    .uniform_work_group_size: 1
    .uses_dynamic_stack: false
    .vgpr_count:     84
    .vgpr_spill_count: 0
    .wavefront_size: 64
amdhsa.target:   amdgcn-amd-amdhsa--gfx906
amdhsa.version:
  - 1
  - 2
...

	.end_amdgpu_metadata
